;; amdgpu-corpus repo=ROCm/rocFFT kind=compiled arch=gfx1030 opt=O3
	.text
	.amdgcn_target "amdgcn-amd-amdhsa--gfx1030"
	.amdhsa_code_object_version 6
	.protected	fft_rtc_back_len275_factors_11_5_5_wgs_55_tpt_55_half_op_CI_CI_unitstride_sbrr_dirReg ; -- Begin function fft_rtc_back_len275_factors_11_5_5_wgs_55_tpt_55_half_op_CI_CI_unitstride_sbrr_dirReg
	.globl	fft_rtc_back_len275_factors_11_5_5_wgs_55_tpt_55_half_op_CI_CI_unitstride_sbrr_dirReg
	.p2align	8
	.type	fft_rtc_back_len275_factors_11_5_5_wgs_55_tpt_55_half_op_CI_CI_unitstride_sbrr_dirReg,@function
fft_rtc_back_len275_factors_11_5_5_wgs_55_tpt_55_half_op_CI_CI_unitstride_sbrr_dirReg: ; @fft_rtc_back_len275_factors_11_5_5_wgs_55_tpt_55_half_op_CI_CI_unitstride_sbrr_dirReg
; %bb.0:
	s_clause 0x2
	s_load_dwordx4 s[12:15], s[4:5], 0x0
	s_load_dwordx4 s[8:11], s[4:5], 0x58
	;; [unrolled: 1-line block ×3, first 2 shown]
	v_mul_u32_u24_e32 v1, 0x4a8, v0
	v_mov_b32_e32 v5, 0
	v_mov_b32_e32 v8, 0
	;; [unrolled: 1-line block ×3, first 2 shown]
	v_add_nc_u32_sdwa v10, s6, v1 dst_sel:DWORD dst_unused:UNUSED_PAD src0_sel:DWORD src1_sel:WORD_1
	v_mov_b32_e32 v11, v5
	s_waitcnt lgkmcnt(0)
	v_cmp_lt_u64_e64 s0, s[14:15], 2
	s_and_b32 vcc_lo, exec_lo, s0
	s_cbranch_vccnz .LBB0_8
; %bb.1:
	s_load_dwordx2 s[0:1], s[4:5], 0x10
	v_mov_b32_e32 v8, 0
	v_mov_b32_e32 v9, 0
	s_add_u32 s2, s18, 8
	s_addc_u32 s3, s19, 0
	v_mov_b32_e32 v1, v8
	s_add_u32 s6, s16, 8
	v_mov_b32_e32 v2, v9
	s_addc_u32 s7, s17, 0
	s_mov_b64 s[22:23], 1
	s_waitcnt lgkmcnt(0)
	s_add_u32 s20, s0, 8
	s_addc_u32 s21, s1, 0
.LBB0_2:                                ; =>This Inner Loop Header: Depth=1
	s_load_dwordx2 s[24:25], s[20:21], 0x0
                                        ; implicit-def: $vgpr3_vgpr4
	s_mov_b32 s0, exec_lo
	s_waitcnt lgkmcnt(0)
	v_or_b32_e32 v6, s25, v11
	v_cmpx_ne_u64_e32 0, v[5:6]
	s_xor_b32 s1, exec_lo, s0
	s_cbranch_execz .LBB0_4
; %bb.3:                                ;   in Loop: Header=BB0_2 Depth=1
	v_cvt_f32_u32_e32 v3, s24
	v_cvt_f32_u32_e32 v4, s25
	s_sub_u32 s0, 0, s24
	s_subb_u32 s26, 0, s25
	v_fmac_f32_e32 v3, 0x4f800000, v4
	v_rcp_f32_e32 v3, v3
	v_mul_f32_e32 v3, 0x5f7ffffc, v3
	v_mul_f32_e32 v4, 0x2f800000, v3
	v_trunc_f32_e32 v4, v4
	v_fmac_f32_e32 v3, 0xcf800000, v4
	v_cvt_u32_f32_e32 v4, v4
	v_cvt_u32_f32_e32 v3, v3
	v_mul_lo_u32 v6, s0, v4
	v_mul_hi_u32 v7, s0, v3
	v_mul_lo_u32 v12, s26, v3
	v_add_nc_u32_e32 v6, v7, v6
	v_mul_lo_u32 v7, s0, v3
	v_add_nc_u32_e32 v6, v6, v12
	v_mul_hi_u32 v12, v3, v7
	v_mul_lo_u32 v13, v3, v6
	v_mul_hi_u32 v14, v3, v6
	v_mul_hi_u32 v15, v4, v7
	v_mul_lo_u32 v7, v4, v7
	v_mul_hi_u32 v16, v4, v6
	v_mul_lo_u32 v6, v4, v6
	v_add_co_u32 v12, vcc_lo, v12, v13
	v_add_co_ci_u32_e32 v13, vcc_lo, 0, v14, vcc_lo
	v_add_co_u32 v7, vcc_lo, v12, v7
	v_add_co_ci_u32_e32 v7, vcc_lo, v13, v15, vcc_lo
	v_add_co_ci_u32_e32 v12, vcc_lo, 0, v16, vcc_lo
	v_add_co_u32 v6, vcc_lo, v7, v6
	v_add_co_ci_u32_e32 v7, vcc_lo, 0, v12, vcc_lo
	v_add_co_u32 v3, vcc_lo, v3, v6
	v_add_co_ci_u32_e32 v4, vcc_lo, v4, v7, vcc_lo
	v_mul_hi_u32 v6, s0, v3
	v_mul_lo_u32 v12, s26, v3
	v_mul_lo_u32 v7, s0, v4
	v_add_nc_u32_e32 v6, v6, v7
	v_mul_lo_u32 v7, s0, v3
	v_add_nc_u32_e32 v6, v6, v12
	v_mul_hi_u32 v12, v3, v7
	v_mul_lo_u32 v13, v3, v6
	v_mul_hi_u32 v14, v3, v6
	v_mul_hi_u32 v15, v4, v7
	v_mul_lo_u32 v7, v4, v7
	v_mul_hi_u32 v16, v4, v6
	v_mul_lo_u32 v6, v4, v6
	v_add_co_u32 v12, vcc_lo, v12, v13
	v_add_co_ci_u32_e32 v13, vcc_lo, 0, v14, vcc_lo
	v_add_co_u32 v7, vcc_lo, v12, v7
	v_add_co_ci_u32_e32 v7, vcc_lo, v13, v15, vcc_lo
	v_add_co_ci_u32_e32 v12, vcc_lo, 0, v16, vcc_lo
	v_add_co_u32 v6, vcc_lo, v7, v6
	v_add_co_ci_u32_e32 v7, vcc_lo, 0, v12, vcc_lo
	v_add_co_u32 v6, vcc_lo, v3, v6
	v_add_co_ci_u32_e32 v12, vcc_lo, v4, v7, vcc_lo
	v_mul_hi_u32 v14, v10, v6
	v_mad_u64_u32 v[6:7], null, v11, v6, 0
	v_mad_u64_u32 v[3:4], null, v10, v12, 0
	;; [unrolled: 1-line block ×3, first 2 shown]
	v_add_co_u32 v3, vcc_lo, v14, v3
	v_add_co_ci_u32_e32 v4, vcc_lo, 0, v4, vcc_lo
	v_add_co_u32 v3, vcc_lo, v3, v6
	v_add_co_ci_u32_e32 v3, vcc_lo, v4, v7, vcc_lo
	v_add_co_ci_u32_e32 v4, vcc_lo, 0, v13, vcc_lo
	v_add_co_u32 v6, vcc_lo, v3, v12
	v_add_co_ci_u32_e32 v7, vcc_lo, 0, v4, vcc_lo
	v_mul_lo_u32 v12, s25, v6
	v_mad_u64_u32 v[3:4], null, s24, v6, 0
	v_mul_lo_u32 v13, s24, v7
	v_sub_co_u32 v3, vcc_lo, v10, v3
	v_add3_u32 v4, v4, v13, v12
	v_sub_nc_u32_e32 v12, v11, v4
	v_subrev_co_ci_u32_e64 v12, s0, s25, v12, vcc_lo
	v_add_co_u32 v13, s0, v6, 2
	v_add_co_ci_u32_e64 v14, s0, 0, v7, s0
	v_sub_co_u32 v15, s0, v3, s24
	v_sub_co_ci_u32_e32 v4, vcc_lo, v11, v4, vcc_lo
	v_subrev_co_ci_u32_e64 v12, s0, 0, v12, s0
	v_cmp_le_u32_e32 vcc_lo, s24, v15
	v_cmp_eq_u32_e64 s0, s25, v4
	v_cndmask_b32_e64 v15, 0, -1, vcc_lo
	v_cmp_le_u32_e32 vcc_lo, s25, v12
	v_cndmask_b32_e64 v16, 0, -1, vcc_lo
	v_cmp_le_u32_e32 vcc_lo, s24, v3
	;; [unrolled: 2-line block ×3, first 2 shown]
	v_cndmask_b32_e64 v17, 0, -1, vcc_lo
	v_cmp_eq_u32_e32 vcc_lo, s25, v12
	v_cndmask_b32_e64 v3, v17, v3, s0
	v_cndmask_b32_e32 v12, v16, v15, vcc_lo
	v_add_co_u32 v15, vcc_lo, v6, 1
	v_add_co_ci_u32_e32 v16, vcc_lo, 0, v7, vcc_lo
	v_cmp_ne_u32_e32 vcc_lo, 0, v12
	v_cndmask_b32_e32 v4, v16, v14, vcc_lo
	v_cndmask_b32_e32 v12, v15, v13, vcc_lo
	v_cmp_ne_u32_e32 vcc_lo, 0, v3
	v_cndmask_b32_e32 v4, v7, v4, vcc_lo
	v_cndmask_b32_e32 v3, v6, v12, vcc_lo
.LBB0_4:                                ;   in Loop: Header=BB0_2 Depth=1
	s_andn2_saveexec_b32 s0, s1
	s_cbranch_execz .LBB0_6
; %bb.5:                                ;   in Loop: Header=BB0_2 Depth=1
	v_cvt_f32_u32_e32 v3, s24
	s_sub_i32 s1, 0, s24
	v_rcp_iflag_f32_e32 v3, v3
	v_mul_f32_e32 v3, 0x4f7ffffe, v3
	v_cvt_u32_f32_e32 v3, v3
	v_mul_lo_u32 v4, s1, v3
	v_mul_hi_u32 v4, v3, v4
	v_add_nc_u32_e32 v3, v3, v4
	v_mul_hi_u32 v3, v10, v3
	v_mul_lo_u32 v4, v3, s24
	v_add_nc_u32_e32 v6, 1, v3
	v_sub_nc_u32_e32 v4, v10, v4
	v_subrev_nc_u32_e32 v7, s24, v4
	v_cmp_le_u32_e32 vcc_lo, s24, v4
	v_cndmask_b32_e32 v4, v4, v7, vcc_lo
	v_cndmask_b32_e32 v3, v3, v6, vcc_lo
	v_cmp_le_u32_e32 vcc_lo, s24, v4
	v_add_nc_u32_e32 v6, 1, v3
	v_mov_b32_e32 v4, v5
	v_cndmask_b32_e32 v3, v3, v6, vcc_lo
.LBB0_6:                                ;   in Loop: Header=BB0_2 Depth=1
	s_or_b32 exec_lo, exec_lo, s0
	v_mul_lo_u32 v12, v4, s24
	v_mul_lo_u32 v13, v3, s25
	s_load_dwordx2 s[0:1], s[6:7], 0x0
	v_mad_u64_u32 v[6:7], null, v3, s24, 0
	s_load_dwordx2 s[24:25], s[2:3], 0x0
	s_add_u32 s22, s22, 1
	s_addc_u32 s23, s23, 0
	s_add_u32 s2, s2, 8
	s_addc_u32 s3, s3, 0
	s_add_u32 s6, s6, 8
	v_add3_u32 v7, v7, v13, v12
	v_sub_co_u32 v6, vcc_lo, v10, v6
	s_addc_u32 s7, s7, 0
	s_add_u32 s20, s20, 8
	v_sub_co_ci_u32_e32 v7, vcc_lo, v11, v7, vcc_lo
	s_addc_u32 s21, s21, 0
	s_waitcnt lgkmcnt(0)
	v_mul_lo_u32 v10, s0, v7
	v_mul_lo_u32 v11, s1, v6
	v_mad_u64_u32 v[8:9], null, s0, v6, v[8:9]
	v_mul_lo_u32 v7, s24, v7
	v_mul_lo_u32 v12, s25, v6
	v_mad_u64_u32 v[1:2], null, s24, v6, v[1:2]
	v_cmp_ge_u64_e64 s0, s[22:23], s[14:15]
	v_add3_u32 v9, v11, v9, v10
	v_add3_u32 v2, v12, v2, v7
	s_and_b32 vcc_lo, exec_lo, s0
	s_cbranch_vccnz .LBB0_9
; %bb.7:                                ;   in Loop: Header=BB0_2 Depth=1
	v_mov_b32_e32 v11, v4
	v_mov_b32_e32 v10, v3
	s_branch .LBB0_2
.LBB0_8:
	v_mov_b32_e32 v1, v8
	v_mov_b32_e32 v3, v10
	;; [unrolled: 1-line block ×4, first 2 shown]
.LBB0_9:
	s_load_dwordx2 s[0:1], s[4:5], 0x28
	s_lshl_b64 s[4:5], s[14:15], 3
	v_mul_hi_u32 v5, 0x4a7904b, v0
	s_add_u32 s2, s18, s4
	s_addc_u32 s3, s19, s5
                                        ; implicit-def: $vgpr18
                                        ; implicit-def: $vgpr7
                                        ; implicit-def: $vgpr17
                                        ; implicit-def: $vgpr10
                                        ; implicit-def: $vgpr16
                                        ; implicit-def: $vgpr11
                                        ; implicit-def: $vgpr15
                                        ; implicit-def: $vgpr12
                                        ; implicit-def: $vgpr14
                                        ; implicit-def: $vgpr13
	s_load_dwordx2 s[2:3], s[2:3], 0x0
	v_mul_u32_u24_e32 v5, 55, v5
	v_sub_nc_u32_e32 v6, v0, v5
	v_mov_b32_e32 v5, 0
	v_mov_b32_e32 v0, 0
	s_waitcnt lgkmcnt(0)
	v_cmp_gt_u64_e32 vcc_lo, s[0:1], v[3:4]
	s_and_saveexec_b32 s1, vcc_lo
	s_cbranch_execz .LBB0_13
; %bb.10:
	v_mov_b32_e32 v0, 0
	s_mov_b32 s6, exec_lo
                                        ; implicit-def: $vgpr13
                                        ; implicit-def: $vgpr14
                                        ; implicit-def: $vgpr12
                                        ; implicit-def: $vgpr15
                                        ; implicit-def: $vgpr11
                                        ; implicit-def: $vgpr16
                                        ; implicit-def: $vgpr10
                                        ; implicit-def: $vgpr17
                                        ; implicit-def: $vgpr7
                                        ; implicit-def: $vgpr18
	v_cmpx_gt_u32_e32 25, v6
	s_cbranch_execz .LBB0_12
; %bb.11:
	s_add_u32 s4, s16, s4
	s_addc_u32 s5, s17, s5
	v_mov_b32_e32 v7, 0
	s_load_dwordx2 s[4:5], s[4:5], 0x0
	v_lshlrev_b64 v[8:9], 2, v[8:9]
	s_waitcnt lgkmcnt(0)
	v_mul_lo_u32 v0, s5, v3
	v_mul_lo_u32 v5, s4, v4
	v_mad_u64_u32 v[10:11], null, s4, v3, 0
	v_add3_u32 v11, v11, v5, v0
	v_lshlrev_b64 v[10:11], 2, v[10:11]
	v_add_co_u32 v0, s0, s8, v10
	v_add_co_ci_u32_e64 v5, s0, s9, v11, s0
	v_lshlrev_b64 v[10:11], 2, v[6:7]
	v_add_co_u32 v0, s0, v0, v8
	v_add_co_ci_u32_e64 v5, s0, v5, v9, s0
	v_add_co_u32 v7, s0, v0, v10
	v_add_co_ci_u32_e64 v8, s0, v5, v11, s0
	s_clause 0xa
	global_load_dword v0, v[7:8], off
	global_load_dword v18, v[7:8], off offset:100
	global_load_dword v17, v[7:8], off offset:200
	;; [unrolled: 1-line block ×10, first 2 shown]
.LBB0_12:
	s_or_b32 exec_lo, exec_lo, s6
	v_mov_b32_e32 v5, v6
.LBB0_13:
	s_or_b32 exec_lo, exec_lo, s1
	s_mov_b32 s1, exec_lo
	v_cmpx_gt_u32_e32 25, v6
	s_cbranch_execz .LBB0_15
; %bb.14:
	s_waitcnt vmcnt(0)
	v_pk_add_f16 v8, v18, v7
	v_pk_add_f16 v9, v18, v7 neg_lo:[0,1] neg_hi:[0,1]
	v_pk_add_f16 v19, v17, v10
	v_pk_add_f16 v20, v17, v10 neg_lo:[0,1] neg_hi:[0,1]
	v_pk_add_f16 v23, v16, v11
	v_lshrrev_b32_e32 v21, 16, v8
	v_mul_f16_e32 v22, 0xba0c, v9
	v_pk_add_f16 v24, v16, v11 neg_lo:[0,1] neg_hi:[0,1]
	v_lshrrev_b32_e32 v25, 16, v19
	v_mul_f16_e32 v26, 0x3beb, v20
	v_lshrrev_b32_e32 v29, 16, v23
	v_fma_f16 v27, v21, 0xb93d, -v22
	v_mul_f16_e32 v30, 0xb853, v24
	v_pk_add_f16 v28, v15, v12
	v_fma_f16 v31, v25, 0xb08e, -v26
	v_pk_add_f16 v32, v15, v12 neg_lo:[0,1] neg_hi:[0,1]
	v_add_f16_sdwa v27, v0, v27 dst_sel:DWORD dst_unused:UNUSED_PAD src0_sel:WORD_1 src1_sel:DWORD
	v_mul_f16_e32 v34, 0xb93d, v8
	v_fma_f16 v35, v29, 0x3abb, -v30
	v_pk_add_f16 v33, v14, v13
	v_pk_add_f16 v36, v14, v13 neg_lo:[0,1] neg_hi:[0,1]
	v_add_f16_e32 v27, v27, v31
	v_lshrrev_b32_e32 v31, 16, v9
	v_lshrrev_b32_e32 v37, 16, v28
	v_mul_f16_e32 v38, 0xb482, v32
	v_mul_f16_e32 v39, 0xb08e, v19
	v_add_f16_e32 v27, v27, v35
	v_fmamk_f16 v35, v31, 0xba0c, v34
	v_lshrrev_b32_e32 v40, 16, v20
	v_fma_f16 v41, v37, 0xbbad, -v38
	v_lshrrev_b32_e32 v42, 16, v33
	v_mul_f16_e32 v43, 0x3b47, v36
	v_add_f16_e32 v35, v0, v35
	v_fmamk_f16 v44, v40, 0x3beb, v39
	v_mul_f16_e32 v45, 0x3abb, v23
	v_lshrrev_b32_e32 v46, 16, v24
	v_add_f16_e32 v27, v27, v41
	v_fma_f16 v41, v42, 0x36a6, -v43
	v_add_f16_e32 v35, v35, v44
	v_mul_f16_e32 v47, 0xbbad, v28
	v_fmamk_f16 v44, v46, 0xb853, v45
	v_lshrrev_b32_e32 v48, 16, v32
	v_mul_f16_e32 v51, 0xbbeb, v31
	v_fmac_f16_e32 v22, 0xb93d, v21
	v_add_f16_e32 v27, v27, v41
	v_add_f16_e32 v35, v35, v44
	v_fmamk_f16 v41, v48, 0xb482, v47
	v_mul_f16_e32 v44, 0xbbeb, v9
	v_fmamk_f16 v54, v8, 0xb08e, v51
	v_mul_f16_e32 v55, 0x3482, v40
	v_add_f16_sdwa v22, v0, v22 dst_sel:DWORD dst_unused:UNUSED_PAD src0_sel:WORD_1 src1_sel:DWORD
	v_fmac_f16_e32 v26, 0xb08e, v25
	v_add_f16_e32 v35, v35, v41
	v_fma_f16 v41, v21, 0xb08e, -v44
	v_mul_f16_e32 v52, 0x3482, v20
	v_add_f16_e32 v54, v0, v54
	v_fmamk_f16 v58, v19, 0xbbad, v55
	v_mul_f16_e32 v59, 0x3b47, v46
	v_add_f16_e32 v22, v22, v26
	v_fmac_f16_e32 v30, 0x3abb, v29
	v_mul_f16_e32 v49, 0x36a6, v33
	v_lshrrev_b32_e32 v50, 16, v36
	v_add_f16_sdwa v41, v0, v41 dst_sel:DWORD dst_unused:UNUSED_PAD src0_sel:WORD_1 src1_sel:DWORD
	v_fma_f16 v56, v25, 0xbbad, -v52
	v_mul_f16_e32 v57, 0x3b47, v24
	v_add_f16_e32 v54, v54, v58
	v_fmamk_f16 v58, v23, 0x36a6, v59
	v_mul_f16_e32 v62, 0xbb47, v9
	v_add_f16_e32 v22, v22, v30
	v_fmac_f16_e32 v38, 0xbbad, v37
	v_fmac_f16_e32 v44, 0xb08e, v21
	v_fma_f16 v30, v8, 0xb08e, -v51
	v_fmamk_f16 v53, v50, 0x3b47, v49
	v_add_f16_e32 v41, v41, v56
	v_fma_f16 v56, v29, 0x36a6, -v57
	v_mul_f16_e32 v60, 0xb853, v32
	v_add_f16_e32 v54, v54, v58
	v_fma_f16 v58, v21, 0x36a6, -v62
	v_mul_f16_e32 v64, 0xba0c, v20
	v_add_f16_e32 v22, v22, v38
	v_add_f16_sdwa v38, v0, v44 dst_sel:DWORD dst_unused:UNUSED_PAD src0_sel:WORD_1 src1_sel:DWORD
	v_fmac_f16_e32 v52, 0xbbad, v25
	v_add_f16_e32 v30, v0, v30
	v_fma_f16 v44, v19, 0xbbad, -v55
	v_fmac_f16_e32 v62, 0x36a6, v21
	v_mul_f16_e32 v61, 0xb853, v48
	v_add_f16_e32 v41, v41, v56
	v_fma_f16 v56, v37, 0x3abb, -v60
	v_mul_f16_e32 v63, 0xba0c, v36
	v_add_f16_e32 v35, v35, v53
	v_add_f16_sdwa v53, v0, v58 dst_sel:DWORD dst_unused:UNUSED_PAD src0_sel:WORD_1 src1_sel:DWORD
	v_fma_f16 v58, v25, 0xb93d, -v64
	v_mul_f16_e32 v67, 0x3482, v24
	v_mul_f16_e32 v68, 0xbb47, v31
	v_fmac_f16_e32 v43, 0x36a6, v42
	v_add_f16_e32 v38, v38, v52
	v_add_f16_e32 v30, v30, v44
	v_fma_f16 v44, v23, 0x36a6, -v59
	v_add_f16_sdwa v52, v0, v62 dst_sel:DWORD dst_unused:UNUSED_PAD src0_sel:WORD_1 src1_sel:DWORD
	v_fmac_f16_e32 v64, 0xb93d, v25
	v_pk_add_f16 v18, v0, v18
	v_add_f16_e32 v41, v41, v56
	v_fma_f16 v56, v42, 0xb93d, -v63
	v_add_f16_e32 v53, v53, v58
	v_fma_f16 v58, v29, 0xbbad, -v67
	v_fmamk_f16 v69, v8, 0x36a6, v68
	v_mul_f16_e32 v70, 0xba0c, v40
	v_add_f16_e32 v30, v30, v44
	v_fma_f16 v44, v28, 0x3abb, -v61
	v_add_f16_e32 v52, v52, v64
	v_fmac_f16_e32 v67, 0xbbad, v29
	v_add_f16_e32 v22, v22, v43
	v_fma_f16 v43, v8, 0x36a6, -v68
	v_pk_add_f16 v17, v18, v17
	v_add_f16_e32 v41, v41, v56
	v_add_f16_e32 v56, v0, v69
	v_mul_f16_e32 v69, 0x3482, v46
	v_add_f16_e32 v30, v30, v44
	v_add_f16_e32 v44, v52, v67
	;; [unrolled: 1-line block ×3, first 2 shown]
	v_fma_f16 v52, v19, 0xb93d, -v70
	v_pk_add_f16 v16, v17, v16
	v_mul_f16_e32 v77, 0xb853, v31
	v_mul_f16_e32 v76, 0xbb47, v20
	;; [unrolled: 1-line block ×3, first 2 shown]
	v_add_f16_e32 v18, v43, v52
	v_fma_f16 v43, v23, 0xbbad, -v69
	v_pk_add_f16 v15, v16, v15
	v_fmamk_f16 v65, v28, 0x3abb, v61
	v_fma_f16 v78, v25, 0x36a6, -v76
	v_mul_f16_e32 v83, 0xbbeb, v46
	v_add_f16_e32 v18, v18, v43
	v_fma_f16 v43, v8, 0x3abb, -v77
	v_pk_add_f16 v14, v15, v14
	v_fmac_f16_e32 v76, 0x36a6, v25
	v_fma_f16 v15, v19, 0x36a6, -v80
	v_add_f16_e32 v54, v54, v65
	v_add_f16_e32 v25, v0, v43
	v_pk_add_f16 v13, v14, v13
	v_mul_f16_e32 v65, 0x3beb, v32
	v_mul_f16_e32 v84, 0xba0c, v48
	v_add_f16_e32 v53, v53, v58
	v_add_f16_e32 v14, v25, v15
	v_fma_f16 v15, v23, 0xb08e, -v83
	v_pk_add_f16 v12, v12, v13
	v_fma_f16 v72, v37, 0xb08e, -v65
	v_mul_f16_e32 v73, 0x3853, v36
	v_mul_f16_e32 v86, 0xb482, v50
	v_add_f16_e32 v13, v14, v15
	v_fma_f16 v14, v28, 0xb93d, -v84
	v_pk_add_f16 v11, v11, v12
	v_mul_f16_e32 v66, 0xba0c, v50
	v_add_f16_e32 v53, v53, v72
	v_fma_f16 v72, v42, 0x3abb, -v73
	v_mul_f16_e32 v74, 0xb853, v9
	v_add_f16_e32 v13, v13, v14
	v_fma_f16 v14, v33, 0xbbad, -v86
	v_pk_add_f16 v10, v10, v11
	v_fmamk_f16 v71, v33, 0xb93d, v66
	v_fmamk_f16 v58, v19, 0xb93d, v70
	v_add_f16_e32 v53, v53, v72
	v_fma_f16 v72, v21, 0x3abb, -v74
	v_add_f16_e32 v13, v13, v14
	v_pk_add_f16 v14, v7, v10
	v_pk_mul_f16 v7, 0xbbad, v8 op_sel_hi:[0,1]
	v_pk_mul_f16 v9, 0xb482, v9 op_sel_hi:[0,1]
	v_add_f16_e32 v54, v54, v71
	v_add_f16_e32 v56, v56, v58
	v_fmamk_f16 v58, v23, 0xbbad, v69
	v_mul_f16_e32 v71, 0x3beb, v48
	v_add_f16_sdwa v72, v0, v72 dst_sel:DWORD dst_unused:UNUSED_PAD src0_sel:WORD_1 src1_sel:DWORD
	v_mul_f16_e32 v79, 0xbbeb, v24
	v_mul_f16_e32 v16, 0xba0c, v31
	v_pk_mul_f16 v10, 0x3abb, v19 op_sel_hi:[0,1]
	v_pk_mul_f16 v20, 0x3853, v20 op_sel_hi:[0,1]
	v_add_f16_sdwa v7, v9, v7 dst_sel:DWORD dst_unused:UNUSED_PAD src0_sel:WORD_1 src1_sel:DWORD
	v_add_f16_e32 v56, v56, v58
	v_fmamk_f16 v58, v28, 0xb08e, v71
	v_mul_f16_e32 v75, 0x3853, v50
	v_add_f16_e32 v72, v72, v78
	v_fma_f16 v78, v29, 0xb08e, -v79
	v_fmac_f16_e32 v57, 0x36a6, v29
	v_fmac_f16_e32 v74, 0x3abb, v21
	v_mul_f16_e32 v21, 0x3beb, v40
	v_mul_f16_e32 v31, 0xb853, v46
	v_fmac_f16_e32 v79, 0xb08e, v29
	v_pk_mul_f16 v29, 0xb93d, v23 op_sel_hi:[0,1]
	v_pk_mul_f16 v24, 0xba0c, v24 op_sel_hi:[0,1]
	v_add_f16_sdwa v10, v20, v10 dst_sel:DWORD dst_unused:UNUSED_PAD src0_sel:WORD_1 src1_sel:DWORD
	v_add_f16_e32 v7, v0, v7
	v_pack_b32_f16 v16, v16, v9
	v_add_f16_e32 v56, v56, v58
	v_fmamk_f16 v58, v33, 0x3abb, v75
	v_mul_f16_e32 v81, 0xba0c, v32
	v_add_f16_e32 v7, v7, v10
	v_pack_b32_f16 v10, v21, v20
	v_add_f16_sdwa v21, v24, v29 dst_sel:DWORD dst_unused:UNUSED_PAD src0_sel:WORD_1 src1_sel:DWORD
	v_pack_b32_f16 v29, v31, v24
	v_pk_add_f16 v16, v34, v16 neg_lo:[0,1] neg_hi:[0,1]
	v_pk_fma_f16 v31, 0xbbad, v8, v9 op_sel:[0,0,1] op_sel_hi:[0,1,0]
	v_add_f16_e32 v56, v56, v58
	v_fmamk_f16 v58, v8, 0x3abb, v77
	v_fma_f16 v55, v33, 0xb93d, -v66
	v_fmac_f16_e32 v65, 0xb08e, v37
	v_mul_f16_e32 v40, 0xb482, v48
	v_pk_mul_f16 v32, 0x3b47, v32 op_sel_hi:[0,1]
	v_pk_add_f16 v10, v39, v10 neg_lo:[0,1] neg_hi:[0,1]
	v_pk_fma_f16 v34, 0x3abb, v19, v20 op_sel:[0,0,1] op_sel_hi:[0,1,0]
	v_pk_fma_f16 v8, 0xbbad, v8, v9 op_sel:[0,0,1] op_sel_hi:[0,1,0] neg_lo:[0,0,1] neg_hi:[0,0,1]
	v_bfi_b32 v9, 0xffff, v16, v31
	v_add_f16_e32 v58, v0, v58
	v_fmamk_f16 v82, v19, 0x36a6, v80
	v_mul_f16_e32 v85, 0xb482, v36
	v_add_f16_e32 v17, v30, v55
	v_add_f16_e32 v30, v44, v65
	v_mul_f16_e32 v44, 0x3b47, v50
	v_add_f16_sdwa v46, v0, v74 dst_sel:DWORD dst_unused:UNUSED_PAD src0_sel:WORD_1 src1_sel:DWORD
	v_pk_mul_f16 v36, 0xbbeb, v36 op_sel_hi:[0,1]
	v_pk_add_f16 v29, v45, v29 neg_lo:[0,1] neg_hi:[0,1]
	v_pk_fma_f16 v39, 0xb93d, v23, v24 op_sel:[0,0,1] op_sel_hi:[0,1,0]
	v_pack_b32_f16 v16, v40, v32
	v_bfi_b32 v10, 0xffff, v10, v34
	v_pk_add_f16 v8, v0, v8
	v_pk_fma_f16 v19, 0x3abb, v19, v20 op_sel:[0,0,1] op_sel_hi:[0,1,0] neg_lo:[0,0,1] neg_hi:[0,0,1]
	v_pk_add_f16 v0, v0, v9
	v_add_f16_e32 v58, v58, v82
	v_fmamk_f16 v82, v23, 0xb08e, v83
	v_fmac_f16_e32 v73, 0x3abb, v42
	v_bfi_b32 v29, 0xffff, v29, v39
	v_pk_add_f16 v16, v47, v16 neg_lo:[0,1] neg_hi:[0,1]
	v_pk_fma_f16 v20, 0x36a6, v28, v32 op_sel:[0,0,1] op_sel_hi:[0,1,0]
	v_pack_b32_f16 v9, v44, v36
	v_pk_add_f16 v8, v8, v19
	v_pk_fma_f16 v19, 0xb93d, v23, v24 op_sel:[0,0,1] op_sel_hi:[0,1,0] neg_lo:[0,0,1] neg_hi:[0,0,1]
	v_pk_add_f16 v0, v0, v10
	v_add_f16_e32 v46, v46, v76
	v_add_f16_e32 v72, v72, v78
	v_fma_f16 v78, v37, 0xb93d, -v81
	v_add_f16_e32 v58, v58, v82
	v_fmamk_f16 v82, v28, 0xb93d, v84
	v_add_f16_e32 v11, v30, v73
	v_pk_mul_f16 v30, 0x36a6, v28 op_sel_hi:[0,1]
	v_add_f16_e32 v38, v38, v57
	v_fmac_f16_e32 v60, 0x3abb, v37
	v_fma_f16 v43, v28, 0xb08e, -v71
	v_bfi_b32 v16, 0xffff, v16, v20
	v_pk_add_f16 v9, v49, v9 neg_lo:[0,1] neg_hi:[0,1]
	v_pk_fma_f16 v10, 0xb08e, v33, v36 op_sel:[0,0,1] op_sel_hi:[0,1,0]
	v_pk_add_f16 v8, v8, v19
	v_pk_fma_f16 v19, 0x36a6, v28, v32 op_sel:[0,0,1] op_sel_hi:[0,1,0] neg_lo:[0,0,1] neg_hi:[0,0,1]
	v_pk_add_f16 v0, v0, v29
	v_add_f16_e32 v25, v46, v79
	v_fmac_f16_e32 v81, 0xb93d, v37
	v_add_f16_e32 v26, v72, v78
	v_fma_f16 v72, v42, 0xbbad, -v85
	v_add_f16_e32 v58, v58, v82
	v_fmamk_f16 v78, v33, 0xbbad, v86
	v_pk_mul_f16 v37, 0xb08e, v33 op_sel_hi:[0,1]
	v_add_f16_e32 v7, v7, v21
	v_add_f16_sdwa v20, v32, v30 dst_sel:DWORD dst_unused:UNUSED_PAD src0_sel:WORD_1 src1_sel:DWORD
	v_add_f16_e32 v38, v38, v60
	v_fmac_f16_e32 v63, 0xb93d, v42
	v_add_f16_e32 v18, v18, v43
	v_fma_f16 v15, v33, 0x3abb, -v75
	v_bfi_b32 v9, 0xffff, v9, v10
	v_pk_add_f16 v8, v8, v19
	v_pk_add_f16 v0, v0, v16
	v_pk_fma_f16 v10, 0xb08e, v33, v36 op_sel:[0,0,1] op_sel_hi:[0,1,0] neg_lo:[0,0,1] neg_hi:[0,0,1]
	v_add_f16_e32 v12, v25, v81
	v_fmac_f16_e32 v85, 0xbbad, v42
	v_add_f16_e32 v26, v26, v72
	v_add_f16_e32 v51, v58, v78
	;; [unrolled: 1-line block ×3, first 2 shown]
	v_add_f16_sdwa v19, v36, v37 dst_sel:DWORD dst_unused:UNUSED_PAD src0_sel:WORD_1 src1_sel:DWORD
	v_add_f16_e32 v38, v38, v63
	v_add_f16_e32 v15, v18, v15
	v_pk_add_f16 v0, v0, v9
	v_pk_add_f16 v9, v8, v10
	v_add_f16_e32 v12, v12, v85
	v_mad_u32_u24 v18, v6, 44, 0
	v_pack_b32_f16 v25, v56, v53
	v_pack_b32_f16 v16, v51, v26
	;; [unrolled: 1-line block ×4, first 2 shown]
	v_add_f16_e32 v19, v7, v19
	v_alignbit_b32 v8, v0, v0, 16
	v_alignbit_b32 v7, v9, v9, 16
	v_pack_b32_f16 v10, v38, v15
	v_pack_b32_f16 v9, v22, v17
	;; [unrolled: 1-line block ×3, first 2 shown]
	ds_write2_b32 v18, v16, v25 offset0:1 offset1:2
	ds_write2_b32 v18, v21, v20 offset0:3 offset1:4
	ds_write_b16 v18, v19 offset:20
	ds_write_b128 v18, v[7:10] offset:22
	ds_write_b16 v18, v11 offset:38
	ds_write2_b32 v18, v14, v0 offset1:10
.LBB0_15:
	s_or_b32 exec_lo, exec_lo, s1
	s_waitcnt vmcnt(10)
	v_and_b32_e32 v0, 0xff, v6
	s_waitcnt vmcnt(0) lgkmcnt(0)
	s_barrier
	buffer_gl0_inv
	v_mov_b32_e32 v18, 0xdc
	v_mul_lo_u16 v0, 0x75, v0
	v_mov_b32_e32 v19, 2
	v_lshrrev_b16 v0, 8, v0
	v_sub_nc_u16 v7, v6, v0
	v_lshrrev_b16 v7, 1, v7
	v_and_b32_e32 v7, 0x7f, v7
	v_add_nc_u16 v0, v7, v0
	v_mov_b32_e32 v7, 4
	v_lshrrev_b16 v15, 3, v0
	v_mul_lo_u16 v0, v15, 11
	v_mul_u32_u24_sdwa v15, v15, v18 dst_sel:DWORD dst_unused:UNUSED_PAD src0_sel:WORD_0 src1_sel:DWORD
	v_sub_nc_u16 v16, v6, v0
	v_lshlrev_b32_sdwa v0, v7, v16 dst_sel:DWORD dst_unused:UNUSED_PAD src0_sel:DWORD src1_sel:BYTE_0
	v_lshlrev_b32_sdwa v16, v19, v16 dst_sel:DWORD dst_unused:UNUSED_PAD src0_sel:DWORD src1_sel:BYTE_0
	global_load_dwordx4 v[7:10], v0, s[12:13]
	v_lshl_add_u32 v0, v6, 2, 0
	v_add3_u32 v15, 0, v15, v16
	ds_read2_b32 v[11:12], v0 offset1:55
	ds_read2_b32 v[13:14], v0 offset0:110 offset1:165
	ds_read_b32 v17, v0 offset:880
	ds_read_u16 v20, v0 offset:2
	s_waitcnt vmcnt(0) lgkmcnt(0)
	s_barrier
	buffer_gl0_inv
	v_lshrrev_b32_e32 v21, 16, v12
	v_lshrrev_b32_e32 v18, 16, v13
	;; [unrolled: 1-line block ×4, first 2 shown]
	v_mul_f16_sdwa v16, v7, v21 dst_sel:DWORD dst_unused:UNUSED_PAD src0_sel:WORD_1 src1_sel:DWORD
	v_mul_f16_sdwa v23, v7, v12 dst_sel:DWORD dst_unused:UNUSED_PAD src0_sel:WORD_1 src1_sel:DWORD
	;; [unrolled: 1-line block ×8, first 2 shown]
	v_fmac_f16_e32 v16, v7, v12
	v_fma_f16 v7, v7, v21, -v23
	v_fmac_f16_e32 v24, v8, v13
	v_fma_f16 v8, v8, v18, -v25
	;; [unrolled: 2-line block ×4, first 2 shown]
	v_add_f16_e32 v25, v20, v7
	v_add_f16_e32 v13, v24, v26
	;; [unrolled: 1-line block ×6, first 2 shown]
	v_sub_f16_e32 v14, v7, v12
	v_sub_f16_e32 v17, v8, v9
	;; [unrolled: 1-line block ×9, first 2 shown]
	v_fma_f16 v13, -0.5, v13, v11
	v_fmac_f16_e32 v11, -0.5, v21
	v_add_f16_e32 v8, v25, v8
	v_fma_f16 v21, -0.5, v27, v20
	v_sub_f16_e32 v29, v24, v26
	v_fmac_f16_e32 v20, -0.5, v32
	v_sub_f16_e32 v31, v12, v9
	v_sub_f16_e32 v33, v9, v12
	v_add_f16_e32 v10, v10, v24
	v_add_f16_e32 v18, v18, v19
	;; [unrolled: 1-line block ×3, first 2 shown]
	v_fmamk_f16 v23, v14, 0xbb9c, v13
	v_add_f16_e32 v8, v8, v9
	v_fmamk_f16 v9, v16, 0x3b9c, v21
	v_fmamk_f16 v24, v17, 0x3b9c, v11
	v_fmac_f16_e32 v11, 0xbb9c, v17
	v_fmamk_f16 v25, v29, 0xbb9c, v20
	v_fmac_f16_e32 v20, 0x3b9c, v29
	v_fmac_f16_e32 v13, 0x3b9c, v14
	;; [unrolled: 1-line block ×3, first 2 shown]
	v_add_f16_e32 v22, v30, v31
	v_add_f16_e32 v10, v10, v26
	v_fmac_f16_e32 v23, 0xb8b4, v17
	v_fmac_f16_e32 v9, 0x38b4, v29
	v_add_f16_e32 v7, v7, v33
	v_fmac_f16_e32 v24, 0xb8b4, v14
	v_fmac_f16_e32 v11, 0x38b4, v14
	v_fmac_f16_e32 v25, 0x38b4, v16
	v_fmac_f16_e32 v20, 0xb8b4, v16
	v_fmac_f16_e32 v13, 0x38b4, v17
	v_fmac_f16_e32 v21, 0xb8b4, v29
	v_add_f16_e32 v10, v10, v28
	v_add_f16_e32 v8, v8, v12
	v_fmac_f16_e32 v23, 0x34f2, v18
	v_fmac_f16_e32 v9, 0x34f2, v22
	;; [unrolled: 1-line block ×8, first 2 shown]
	v_pack_b32_f16 v7, v10, v8
	v_pack_b32_f16 v8, v23, v9
	;; [unrolled: 1-line block ×5, first 2 shown]
	ds_write2_b32 v15, v7, v8 offset1:11
	ds_write2_b32 v15, v9, v10 offset0:22 offset1:33
	ds_write_b32 v15, v11 offset:176
	s_waitcnt lgkmcnt(0)
	s_barrier
	buffer_gl0_inv
	s_and_saveexec_b32 s0, vcc_lo
	s_cbranch_execz .LBB0_17
; %bb.16:
	v_lshlrev_b32_e32 v10, 2, v6
	v_mov_b32_e32 v11, 0
	v_mul_lo_u32 v16, s2, v4
	v_lshlrev_b64 v[6:7], 2, v[10:11]
	v_add_co_u32 v6, vcc_lo, s12, v6
	v_add_co_ci_u32_e32 v7, vcc_lo, s13, v7, vcc_lo
	global_load_dwordx4 v[7:10], v[6:7], off offset:176
	v_mul_lo_u32 v6, s3, v3
	v_mad_u64_u32 v[3:4], null, s2, v3, 0
	ds_read2_b32 v[12:13], v0 offset1:55
	ds_read2_b32 v[14:15], v0 offset0:110 offset1:165
	ds_read_b32 v17, v0 offset:880
	v_add3_u32 v4, v4, v16, v6
	v_mov_b32_e32 v6, v11
	ds_read_u16 v11, v0 offset:2
	v_lshlrev_b64 v[0:1], 2, v[1:2]
	v_lshlrev_b64 v[3:4], 2, v[3:4]
	;; [unrolled: 1-line block ×3, first 2 shown]
	v_add_co_u32 v2, vcc_lo, s10, v3
	v_add_co_ci_u32_e32 v3, vcc_lo, s11, v4, vcc_lo
	s_waitcnt lgkmcnt(3)
	v_lshrrev_b32_e32 v4, 16, v13
	v_add_co_u32 v0, vcc_lo, v2, v0
	s_waitcnt lgkmcnt(2)
	v_lshrrev_b32_e32 v16, 16, v14
	s_waitcnt lgkmcnt(1)
	v_lshrrev_b32_e32 v18, 16, v17
	v_add_co_ci_u32_e32 v1, vcc_lo, v3, v1, vcc_lo
	v_lshrrev_b32_e32 v2, 16, v15
	v_add_co_u32 v0, vcc_lo, v0, v5
	v_add_co_ci_u32_e32 v1, vcc_lo, v1, v6, vcc_lo
	s_waitcnt vmcnt(0)
	v_mul_f16_sdwa v3, v7, v13 dst_sel:DWORD dst_unused:UNUSED_PAD src0_sel:WORD_1 src1_sel:DWORD
	v_mul_f16_sdwa v5, v8, v14 dst_sel:DWORD dst_unused:UNUSED_PAD src0_sel:WORD_1 src1_sel:DWORD
	;; [unrolled: 1-line block ×8, first 2 shown]
	v_fma_f16 v3, v7, v4, -v3
	v_fma_f16 v4, v8, v16, -v5
	;; [unrolled: 1-line block ×4, first 2 shown]
	v_fmac_f16_e32 v20, v7, v13
	v_fmac_f16_e32 v21, v10, v17
	;; [unrolled: 1-line block ×4, first 2 shown]
	v_sub_f16_e32 v6, v3, v4
	v_sub_f16_e32 v7, v5, v2
	v_add_f16_e32 v8, v4, v2
	v_sub_f16_e32 v13, v20, v22
	v_sub_f16_e32 v14, v21, v23
	v_add_f16_e32 v15, v22, v23
	v_add_f16_e32 v24, v3, v5
	v_add_f16_e32 v27, v20, v21
	v_sub_f16_e32 v9, v20, v21
	v_sub_f16_e32 v16, v3, v5
	;; [unrolled: 1-line block ×4, first 2 shown]
	s_waitcnt lgkmcnt(0)
	v_add_f16_e32 v3, v3, v11
	v_add_f16_e32 v20, v20, v12
	v_sub_f16_e32 v19, v2, v5
	v_add_f16_e32 v6, v6, v7
	v_fma_f16 v7, -0.5, v8, v11
	v_add_f16_e32 v8, v13, v14
	v_fma_f16 v13, -0.5, v15, v12
	v_sub_f16_e32 v10, v22, v23
	v_sub_f16_e32 v17, v4, v2
	v_fma_f16 v11, -0.5, v24, v11
	v_fma_f16 v12, -0.5, v27, v12
	v_add_f16_e32 v3, v4, v3
	v_add_f16_e32 v4, v22, v20
	;; [unrolled: 1-line block ×3, first 2 shown]
	v_fmamk_f16 v18, v9, 0xbb9c, v7
	v_fmamk_f16 v19, v16, 0x3b9c, v13
	v_fmac_f16_e32 v7, 0x3b9c, v9
	v_fmac_f16_e32 v13, 0xbb9c, v16
	v_sub_f16_e32 v26, v23, v21
	v_fmamk_f16 v20, v10, 0x3b9c, v11
	v_fmamk_f16 v22, v17, 0xbb9c, v12
	v_fmac_f16_e32 v11, 0xbb9c, v10
	v_fmac_f16_e32 v12, 0x3b9c, v17
	v_add_f16_e32 v2, v3, v2
	v_add_f16_e32 v3, v23, v4
	v_fmac_f16_e32 v7, 0x38b4, v10
	v_fmac_f16_e32 v13, 0xb8b4, v17
	v_add_f16_e32 v15, v25, v26
	v_fmac_f16_e32 v11, 0x38b4, v9
	v_fmac_f16_e32 v12, 0xb8b4, v16
	;; [unrolled: 1-line block ×6, first 2 shown]
	v_add_f16_e32 v2, v5, v2
	v_add_f16_e32 v3, v21, v3
	v_fmac_f16_e32 v7, 0x34f2, v6
	v_fmac_f16_e32 v13, 0x34f2, v8
	;; [unrolled: 1-line block ×8, first 2 shown]
	v_pack_b32_f16 v2, v3, v2
	v_pack_b32_f16 v3, v13, v7
	v_pack_b32_f16 v4, v12, v11
	v_pack_b32_f16 v5, v22, v20
	v_pack_b32_f16 v6, v19, v18
	global_store_dword v[0:1], v2, off
	global_store_dword v[0:1], v3, off offset:220
	global_store_dword v[0:1], v4, off offset:440
	;; [unrolled: 1-line block ×4, first 2 shown]
.LBB0_17:
	s_endpgm
	.section	.rodata,"a",@progbits
	.p2align	6, 0x0
	.amdhsa_kernel fft_rtc_back_len275_factors_11_5_5_wgs_55_tpt_55_half_op_CI_CI_unitstride_sbrr_dirReg
		.amdhsa_group_segment_fixed_size 0
		.amdhsa_private_segment_fixed_size 0
		.amdhsa_kernarg_size 104
		.amdhsa_user_sgpr_count 6
		.amdhsa_user_sgpr_private_segment_buffer 1
		.amdhsa_user_sgpr_dispatch_ptr 0
		.amdhsa_user_sgpr_queue_ptr 0
		.amdhsa_user_sgpr_kernarg_segment_ptr 1
		.amdhsa_user_sgpr_dispatch_id 0
		.amdhsa_user_sgpr_flat_scratch_init 0
		.amdhsa_user_sgpr_private_segment_size 0
		.amdhsa_wavefront_size32 1
		.amdhsa_uses_dynamic_stack 0
		.amdhsa_system_sgpr_private_segment_wavefront_offset 0
		.amdhsa_system_sgpr_workgroup_id_x 1
		.amdhsa_system_sgpr_workgroup_id_y 0
		.amdhsa_system_sgpr_workgroup_id_z 0
		.amdhsa_system_sgpr_workgroup_info 0
		.amdhsa_system_vgpr_workitem_id 0
		.amdhsa_next_free_vgpr 87
		.amdhsa_next_free_sgpr 27
		.amdhsa_reserve_vcc 1
		.amdhsa_reserve_flat_scratch 0
		.amdhsa_float_round_mode_32 0
		.amdhsa_float_round_mode_16_64 0
		.amdhsa_float_denorm_mode_32 3
		.amdhsa_float_denorm_mode_16_64 3
		.amdhsa_dx10_clamp 1
		.amdhsa_ieee_mode 1
		.amdhsa_fp16_overflow 0
		.amdhsa_workgroup_processor_mode 1
		.amdhsa_memory_ordered 1
		.amdhsa_forward_progress 0
		.amdhsa_shared_vgpr_count 0
		.amdhsa_exception_fp_ieee_invalid_op 0
		.amdhsa_exception_fp_denorm_src 0
		.amdhsa_exception_fp_ieee_div_zero 0
		.amdhsa_exception_fp_ieee_overflow 0
		.amdhsa_exception_fp_ieee_underflow 0
		.amdhsa_exception_fp_ieee_inexact 0
		.amdhsa_exception_int_div_zero 0
	.end_amdhsa_kernel
	.text
.Lfunc_end0:
	.size	fft_rtc_back_len275_factors_11_5_5_wgs_55_tpt_55_half_op_CI_CI_unitstride_sbrr_dirReg, .Lfunc_end0-fft_rtc_back_len275_factors_11_5_5_wgs_55_tpt_55_half_op_CI_CI_unitstride_sbrr_dirReg
                                        ; -- End function
	.section	.AMDGPU.csdata,"",@progbits
; Kernel info:
; codeLenInByte = 5224
; NumSgprs: 29
; NumVgprs: 87
; ScratchSize: 0
; MemoryBound: 0
; FloatMode: 240
; IeeeMode: 1
; LDSByteSize: 0 bytes/workgroup (compile time only)
; SGPRBlocks: 3
; VGPRBlocks: 10
; NumSGPRsForWavesPerEU: 29
; NumVGPRsForWavesPerEU: 87
; Occupancy: 10
; WaveLimiterHint : 1
; COMPUTE_PGM_RSRC2:SCRATCH_EN: 0
; COMPUTE_PGM_RSRC2:USER_SGPR: 6
; COMPUTE_PGM_RSRC2:TRAP_HANDLER: 0
; COMPUTE_PGM_RSRC2:TGID_X_EN: 1
; COMPUTE_PGM_RSRC2:TGID_Y_EN: 0
; COMPUTE_PGM_RSRC2:TGID_Z_EN: 0
; COMPUTE_PGM_RSRC2:TIDIG_COMP_CNT: 0
	.text
	.p2alignl 6, 3214868480
	.fill 48, 4, 3214868480
	.type	__hip_cuid_661ece1088a1db1e,@object ; @__hip_cuid_661ece1088a1db1e
	.section	.bss,"aw",@nobits
	.globl	__hip_cuid_661ece1088a1db1e
__hip_cuid_661ece1088a1db1e:
	.byte	0                               ; 0x0
	.size	__hip_cuid_661ece1088a1db1e, 1

	.ident	"AMD clang version 19.0.0git (https://github.com/RadeonOpenCompute/llvm-project roc-6.4.0 25133 c7fe45cf4b819c5991fe208aaa96edf142730f1d)"
	.section	".note.GNU-stack","",@progbits
	.addrsig
	.addrsig_sym __hip_cuid_661ece1088a1db1e
	.amdgpu_metadata
---
amdhsa.kernels:
  - .args:
      - .actual_access:  read_only
        .address_space:  global
        .offset:         0
        .size:           8
        .value_kind:     global_buffer
      - .offset:         8
        .size:           8
        .value_kind:     by_value
      - .actual_access:  read_only
        .address_space:  global
        .offset:         16
        .size:           8
        .value_kind:     global_buffer
      - .actual_access:  read_only
        .address_space:  global
        .offset:         24
        .size:           8
        .value_kind:     global_buffer
      - .actual_access:  read_only
        .address_space:  global
        .offset:         32
        .size:           8
        .value_kind:     global_buffer
      - .offset:         40
        .size:           8
        .value_kind:     by_value
      - .actual_access:  read_only
        .address_space:  global
        .offset:         48
        .size:           8
        .value_kind:     global_buffer
      - .actual_access:  read_only
        .address_space:  global
        .offset:         56
        .size:           8
        .value_kind:     global_buffer
      - .offset:         64
        .size:           4
        .value_kind:     by_value
      - .actual_access:  read_only
        .address_space:  global
        .offset:         72
        .size:           8
        .value_kind:     global_buffer
      - .actual_access:  read_only
        .address_space:  global
        .offset:         80
        .size:           8
        .value_kind:     global_buffer
      - .actual_access:  read_only
        .address_space:  global
        .offset:         88
        .size:           8
        .value_kind:     global_buffer
      - .actual_access:  write_only
        .address_space:  global
        .offset:         96
        .size:           8
        .value_kind:     global_buffer
    .group_segment_fixed_size: 0
    .kernarg_segment_align: 8
    .kernarg_segment_size: 104
    .language:       OpenCL C
    .language_version:
      - 2
      - 0
    .max_flat_workgroup_size: 55
    .name:           fft_rtc_back_len275_factors_11_5_5_wgs_55_tpt_55_half_op_CI_CI_unitstride_sbrr_dirReg
    .private_segment_fixed_size: 0
    .sgpr_count:     29
    .sgpr_spill_count: 0
    .symbol:         fft_rtc_back_len275_factors_11_5_5_wgs_55_tpt_55_half_op_CI_CI_unitstride_sbrr_dirReg.kd
    .uniform_work_group_size: 1
    .uses_dynamic_stack: false
    .vgpr_count:     87
    .vgpr_spill_count: 0
    .wavefront_size: 32
    .workgroup_processor_mode: 1
amdhsa.target:   amdgcn-amd-amdhsa--gfx1030
amdhsa.version:
  - 1
  - 2
...

	.end_amdgpu_metadata
